;; amdgpu-corpus repo=ROCm/rocFFT kind=compiled arch=gfx1201 opt=O3
	.text
	.amdgcn_target "amdgcn-amd-amdhsa--gfx1201"
	.amdhsa_code_object_version 6
	.protected	fft_rtc_fwd_len1404_factors_2_2_3_13_3_3_wgs_117_tpt_117_halfLds_half_ip_CI_unitstride_sbrr_dirReg ; -- Begin function fft_rtc_fwd_len1404_factors_2_2_3_13_3_3_wgs_117_tpt_117_halfLds_half_ip_CI_unitstride_sbrr_dirReg
	.globl	fft_rtc_fwd_len1404_factors_2_2_3_13_3_3_wgs_117_tpt_117_halfLds_half_ip_CI_unitstride_sbrr_dirReg
	.p2align	8
	.type	fft_rtc_fwd_len1404_factors_2_2_3_13_3_3_wgs_117_tpt_117_halfLds_half_ip_CI_unitstride_sbrr_dirReg,@function
fft_rtc_fwd_len1404_factors_2_2_3_13_3_3_wgs_117_tpt_117_halfLds_half_ip_CI_unitstride_sbrr_dirReg: ; @fft_rtc_fwd_len1404_factors_2_2_3_13_3_3_wgs_117_tpt_117_halfLds_half_ip_CI_unitstride_sbrr_dirReg
; %bb.0:
	s_clause 0x2
	s_load_b128 s[4:7], s[0:1], 0x0
	s_load_b64 s[8:9], s[0:1], 0x50
	s_load_b64 s[10:11], s[0:1], 0x18
	v_mul_u32_u24_e32 v1, 0x231, v0
	v_mov_b32_e32 v3, 0
	s_delay_alu instid0(VALU_DEP_2) | instskip(NEXT) | instid1(VALU_DEP_1)
	v_lshrrev_b32_e32 v1, 16, v1
	v_add_nc_u32_e32 v5, ttmp9, v1
	v_mov_b32_e32 v1, 0
	v_mov_b32_e32 v2, 0
	;; [unrolled: 1-line block ×3, first 2 shown]
	s_wait_kmcnt 0x0
	v_cmp_lt_u64_e64 s2, s[6:7], 2
	s_delay_alu instid0(VALU_DEP_1)
	s_and_b32 vcc_lo, exec_lo, s2
	s_cbranch_vccnz .LBB0_8
; %bb.1:
	s_load_b64 s[2:3], s[0:1], 0x10
	v_mov_b32_e32 v1, 0
	v_mov_b32_e32 v2, 0
	s_add_nc_u64 s[12:13], s[10:11], 8
	s_mov_b64 s[14:15], 1
	s_wait_kmcnt 0x0
	s_add_nc_u64 s[16:17], s[2:3], 8
	s_mov_b32 s3, 0
.LBB0_2:                                ; =>This Inner Loop Header: Depth=1
	s_load_b64 s[18:19], s[16:17], 0x0
                                        ; implicit-def: $vgpr7_vgpr8
	s_mov_b32 s2, exec_lo
	s_wait_kmcnt 0x0
	v_or_b32_e32 v4, s19, v6
	s_delay_alu instid0(VALU_DEP_1)
	v_cmpx_ne_u64_e32 0, v[3:4]
	s_wait_alu 0xfffe
	s_xor_b32 s20, exec_lo, s2
	s_cbranch_execz .LBB0_4
; %bb.3:                                ;   in Loop: Header=BB0_2 Depth=1
	s_cvt_f32_u32 s2, s18
	s_cvt_f32_u32 s21, s19
	s_sub_nc_u64 s[24:25], 0, s[18:19]
	s_wait_alu 0xfffe
	s_delay_alu instid0(SALU_CYCLE_1) | instskip(SKIP_1) | instid1(SALU_CYCLE_2)
	s_fmamk_f32 s2, s21, 0x4f800000, s2
	s_wait_alu 0xfffe
	v_s_rcp_f32 s2, s2
	s_delay_alu instid0(TRANS32_DEP_1) | instskip(SKIP_1) | instid1(SALU_CYCLE_2)
	s_mul_f32 s2, s2, 0x5f7ffffc
	s_wait_alu 0xfffe
	s_mul_f32 s21, s2, 0x2f800000
	s_wait_alu 0xfffe
	s_delay_alu instid0(SALU_CYCLE_2) | instskip(SKIP_1) | instid1(SALU_CYCLE_2)
	s_trunc_f32 s21, s21
	s_wait_alu 0xfffe
	s_fmamk_f32 s2, s21, 0xcf800000, s2
	s_cvt_u32_f32 s23, s21
	s_wait_alu 0xfffe
	s_delay_alu instid0(SALU_CYCLE_1) | instskip(SKIP_1) | instid1(SALU_CYCLE_2)
	s_cvt_u32_f32 s22, s2
	s_wait_alu 0xfffe
	s_mul_u64 s[26:27], s[24:25], s[22:23]
	s_wait_alu 0xfffe
	s_mul_hi_u32 s29, s22, s27
	s_mul_i32 s28, s22, s27
	s_mul_hi_u32 s2, s22, s26
	s_mul_i32 s30, s23, s26
	s_wait_alu 0xfffe
	s_add_nc_u64 s[28:29], s[2:3], s[28:29]
	s_mul_hi_u32 s21, s23, s26
	s_mul_hi_u32 s31, s23, s27
	s_add_co_u32 s2, s28, s30
	s_wait_alu 0xfffe
	s_add_co_ci_u32 s2, s29, s21
	s_mul_i32 s26, s23, s27
	s_add_co_ci_u32 s27, s31, 0
	s_wait_alu 0xfffe
	s_add_nc_u64 s[26:27], s[2:3], s[26:27]
	s_wait_alu 0xfffe
	v_add_co_u32 v4, s2, s22, s26
	s_delay_alu instid0(VALU_DEP_1) | instskip(SKIP_1) | instid1(VALU_DEP_1)
	s_cmp_lg_u32 s2, 0
	s_add_co_ci_u32 s23, s23, s27
	v_readfirstlane_b32 s22, v4
	s_wait_alu 0xfffe
	s_delay_alu instid0(VALU_DEP_1)
	s_mul_u64 s[24:25], s[24:25], s[22:23]
	s_wait_alu 0xfffe
	s_mul_hi_u32 s27, s22, s25
	s_mul_i32 s26, s22, s25
	s_mul_hi_u32 s2, s22, s24
	s_mul_i32 s28, s23, s24
	s_wait_alu 0xfffe
	s_add_nc_u64 s[26:27], s[2:3], s[26:27]
	s_mul_hi_u32 s21, s23, s24
	s_mul_hi_u32 s22, s23, s25
	s_wait_alu 0xfffe
	s_add_co_u32 s2, s26, s28
	s_add_co_ci_u32 s2, s27, s21
	s_mul_i32 s24, s23, s25
	s_add_co_ci_u32 s25, s22, 0
	s_wait_alu 0xfffe
	s_add_nc_u64 s[24:25], s[2:3], s[24:25]
	s_wait_alu 0xfffe
	v_add_co_u32 v4, s2, v4, s24
	s_delay_alu instid0(VALU_DEP_1) | instskip(SKIP_1) | instid1(VALU_DEP_1)
	s_cmp_lg_u32 s2, 0
	s_add_co_ci_u32 s2, s23, s25
	v_mul_hi_u32 v13, v5, v4
	s_wait_alu 0xfffe
	v_mad_co_u64_u32 v[7:8], null, v5, s2, 0
	v_mad_co_u64_u32 v[9:10], null, v6, v4, 0
	;; [unrolled: 1-line block ×3, first 2 shown]
	s_delay_alu instid0(VALU_DEP_3) | instskip(SKIP_1) | instid1(VALU_DEP_4)
	v_add_co_u32 v4, vcc_lo, v13, v7
	s_wait_alu 0xfffd
	v_add_co_ci_u32_e32 v7, vcc_lo, 0, v8, vcc_lo
	s_delay_alu instid0(VALU_DEP_2) | instskip(SKIP_1) | instid1(VALU_DEP_2)
	v_add_co_u32 v4, vcc_lo, v4, v9
	s_wait_alu 0xfffd
	v_add_co_ci_u32_e32 v4, vcc_lo, v7, v10, vcc_lo
	s_wait_alu 0xfffd
	v_add_co_ci_u32_e32 v7, vcc_lo, 0, v12, vcc_lo
	s_delay_alu instid0(VALU_DEP_2) | instskip(SKIP_1) | instid1(VALU_DEP_2)
	v_add_co_u32 v4, vcc_lo, v4, v11
	s_wait_alu 0xfffd
	v_add_co_ci_u32_e32 v9, vcc_lo, 0, v7, vcc_lo
	s_delay_alu instid0(VALU_DEP_2) | instskip(SKIP_1) | instid1(VALU_DEP_3)
	v_mul_lo_u32 v10, s19, v4
	v_mad_co_u64_u32 v[7:8], null, s18, v4, 0
	v_mul_lo_u32 v11, s18, v9
	s_delay_alu instid0(VALU_DEP_2) | instskip(NEXT) | instid1(VALU_DEP_2)
	v_sub_co_u32 v7, vcc_lo, v5, v7
	v_add3_u32 v8, v8, v11, v10
	s_delay_alu instid0(VALU_DEP_1) | instskip(SKIP_1) | instid1(VALU_DEP_1)
	v_sub_nc_u32_e32 v10, v6, v8
	s_wait_alu 0xfffd
	v_subrev_co_ci_u32_e64 v10, s2, s19, v10, vcc_lo
	v_add_co_u32 v11, s2, v4, 2
	s_wait_alu 0xf1ff
	v_add_co_ci_u32_e64 v12, s2, 0, v9, s2
	v_sub_co_u32 v13, s2, v7, s18
	v_sub_co_ci_u32_e32 v8, vcc_lo, v6, v8, vcc_lo
	s_wait_alu 0xf1ff
	v_subrev_co_ci_u32_e64 v10, s2, 0, v10, s2
	s_delay_alu instid0(VALU_DEP_3) | instskip(NEXT) | instid1(VALU_DEP_3)
	v_cmp_le_u32_e32 vcc_lo, s18, v13
	v_cmp_eq_u32_e64 s2, s19, v8
	s_wait_alu 0xfffd
	v_cndmask_b32_e64 v13, 0, -1, vcc_lo
	v_cmp_le_u32_e32 vcc_lo, s19, v10
	s_wait_alu 0xfffd
	v_cndmask_b32_e64 v14, 0, -1, vcc_lo
	v_cmp_le_u32_e32 vcc_lo, s18, v7
	;; [unrolled: 3-line block ×3, first 2 shown]
	s_wait_alu 0xfffd
	v_cndmask_b32_e64 v15, 0, -1, vcc_lo
	v_cmp_eq_u32_e32 vcc_lo, s19, v10
	s_wait_alu 0xf1ff
	s_delay_alu instid0(VALU_DEP_2)
	v_cndmask_b32_e64 v7, v15, v7, s2
	s_wait_alu 0xfffd
	v_cndmask_b32_e32 v10, v14, v13, vcc_lo
	v_add_co_u32 v13, vcc_lo, v4, 1
	s_wait_alu 0xfffd
	v_add_co_ci_u32_e32 v14, vcc_lo, 0, v9, vcc_lo
	s_delay_alu instid0(VALU_DEP_3) | instskip(SKIP_2) | instid1(VALU_DEP_3)
	v_cmp_ne_u32_e32 vcc_lo, 0, v10
	s_wait_alu 0xfffd
	v_cndmask_b32_e32 v10, v13, v11, vcc_lo
	v_cndmask_b32_e32 v8, v14, v12, vcc_lo
	v_cmp_ne_u32_e32 vcc_lo, 0, v7
	s_wait_alu 0xfffd
	s_delay_alu instid0(VALU_DEP_2)
	v_dual_cndmask_b32 v7, v4, v10 :: v_dual_cndmask_b32 v8, v9, v8
.LBB0_4:                                ;   in Loop: Header=BB0_2 Depth=1
	s_wait_alu 0xfffe
	s_and_not1_saveexec_b32 s2, s20
	s_cbranch_execz .LBB0_6
; %bb.5:                                ;   in Loop: Header=BB0_2 Depth=1
	v_cvt_f32_u32_e32 v4, s18
	s_sub_co_i32 s20, 0, s18
	s_delay_alu instid0(VALU_DEP_1) | instskip(NEXT) | instid1(TRANS32_DEP_1)
	v_rcp_iflag_f32_e32 v4, v4
	v_mul_f32_e32 v4, 0x4f7ffffe, v4
	s_delay_alu instid0(VALU_DEP_1) | instskip(SKIP_1) | instid1(VALU_DEP_1)
	v_cvt_u32_f32_e32 v4, v4
	s_wait_alu 0xfffe
	v_mul_lo_u32 v7, s20, v4
	s_delay_alu instid0(VALU_DEP_1) | instskip(NEXT) | instid1(VALU_DEP_1)
	v_mul_hi_u32 v7, v4, v7
	v_add_nc_u32_e32 v4, v4, v7
	s_delay_alu instid0(VALU_DEP_1) | instskip(NEXT) | instid1(VALU_DEP_1)
	v_mul_hi_u32 v4, v5, v4
	v_mul_lo_u32 v7, v4, s18
	v_add_nc_u32_e32 v8, 1, v4
	s_delay_alu instid0(VALU_DEP_2) | instskip(NEXT) | instid1(VALU_DEP_1)
	v_sub_nc_u32_e32 v7, v5, v7
	v_subrev_nc_u32_e32 v9, s18, v7
	v_cmp_le_u32_e32 vcc_lo, s18, v7
	s_wait_alu 0xfffd
	s_delay_alu instid0(VALU_DEP_2) | instskip(NEXT) | instid1(VALU_DEP_1)
	v_dual_cndmask_b32 v7, v7, v9 :: v_dual_cndmask_b32 v4, v4, v8
	v_cmp_le_u32_e32 vcc_lo, s18, v7
	s_delay_alu instid0(VALU_DEP_2) | instskip(SKIP_1) | instid1(VALU_DEP_1)
	v_add_nc_u32_e32 v8, 1, v4
	s_wait_alu 0xfffd
	v_dual_cndmask_b32 v7, v4, v8 :: v_dual_mov_b32 v8, v3
.LBB0_6:                                ;   in Loop: Header=BB0_2 Depth=1
	s_wait_alu 0xfffe
	s_or_b32 exec_lo, exec_lo, s2
	s_load_b64 s[20:21], s[12:13], 0x0
	s_delay_alu instid0(VALU_DEP_1)
	v_mul_lo_u32 v4, v8, s18
	v_mul_lo_u32 v11, v7, s19
	v_mad_co_u64_u32 v[9:10], null, v7, s18, 0
	s_add_nc_u64 s[14:15], s[14:15], 1
	s_add_nc_u64 s[12:13], s[12:13], 8
	s_wait_alu 0xfffe
	v_cmp_ge_u64_e64 s2, s[14:15], s[6:7]
	s_add_nc_u64 s[16:17], s[16:17], 8
	s_delay_alu instid0(VALU_DEP_2) | instskip(NEXT) | instid1(VALU_DEP_3)
	v_add3_u32 v4, v10, v11, v4
	v_sub_co_u32 v5, vcc_lo, v5, v9
	s_wait_alu 0xfffd
	s_delay_alu instid0(VALU_DEP_2) | instskip(SKIP_3) | instid1(VALU_DEP_2)
	v_sub_co_ci_u32_e32 v4, vcc_lo, v6, v4, vcc_lo
	s_and_b32 vcc_lo, exec_lo, s2
	s_wait_kmcnt 0x0
	v_mul_lo_u32 v6, s21, v5
	v_mul_lo_u32 v4, s20, v4
	v_mad_co_u64_u32 v[1:2], null, s20, v5, v[1:2]
	s_delay_alu instid0(VALU_DEP_1)
	v_add3_u32 v2, v6, v2, v4
	s_wait_alu 0xfffe
	s_cbranch_vccnz .LBB0_9
; %bb.7:                                ;   in Loop: Header=BB0_2 Depth=1
	v_dual_mov_b32 v5, v7 :: v_dual_mov_b32 v6, v8
	s_branch .LBB0_2
.LBB0_8:
	v_dual_mov_b32 v8, v6 :: v_dual_mov_b32 v7, v5
.LBB0_9:
	s_lshl_b64 s[2:3], s[6:7], 3
	v_mul_hi_u32 v6, 0x2302303, v0
	s_wait_alu 0xfffe
	s_add_nc_u64 s[2:3], s[10:11], s[2:3]
	v_dual_mov_b32 v3, 0 :: v_dual_mov_b32 v14, 0
	s_load_b64 s[2:3], s[2:3], 0x0
	s_load_b64 s[0:1], s[0:1], 0x20
                                        ; implicit-def: $vgpr18
                                        ; implicit-def: $vgpr11
                                        ; implicit-def: $vgpr20
                                        ; implicit-def: $vgpr12
                                        ; implicit-def: $vgpr19
                                        ; implicit-def: $vgpr13
                                        ; implicit-def: $vgpr17
                                        ; implicit-def: $vgpr15
                                        ; implicit-def: $vgpr16
	s_wait_kmcnt 0x0
	v_mul_lo_u32 v9, s2, v8
	v_mul_lo_u32 v10, s3, v7
	v_mad_co_u64_u32 v[4:5], null, s2, v7, v[1:2]
	v_mul_u32_u24_e32 v1, 0x75, v6
	v_cmp_gt_u64_e32 vcc_lo, s[0:1], v[7:8]
	v_mov_b32_e32 v6, 0
                                        ; implicit-def: $vgpr7
                                        ; implicit-def: $vgpr8
	s_delay_alu instid0(VALU_DEP_3) | instskip(SKIP_2) | instid1(VALU_DEP_2)
	v_sub_nc_u32_e32 v2, v0, v1
	v_add3_u32 v5, v10, v5, v9
	v_mov_b32_e32 v10, 0
                                        ; implicit-def: $vgpr9
	v_lshlrev_b64_e32 v[0:1], 2, v[4:5]
	v_dual_mov_b32 v5, 0 :: v_dual_mov_b32 v4, 0
	s_and_saveexec_b32 s1, vcc_lo
	s_cbranch_execz .LBB0_11
; %bb.10:
	v_mov_b32_e32 v3, 0
	s_delay_alu instid0(VALU_DEP_3) | instskip(SKIP_2) | instid1(VALU_DEP_3)
	v_add_co_u32 v5, s0, s8, v0
	s_wait_alu 0xf1ff
	v_add_co_ci_u32_e64 v6, s0, s9, v1, s0
	v_lshlrev_b64_e32 v[3:4], 2, v[2:3]
	s_delay_alu instid0(VALU_DEP_1) | instskip(SKIP_1) | instid1(VALU_DEP_2)
	v_add_co_u32 v15, s0, v5, v3
	s_wait_alu 0xf1ff
	v_add_co_ci_u32_e64 v16, s0, v6, v4, s0
	s_clause 0xb
	global_load_b32 v11, v[15:16], off offset:2808
	global_load_b32 v12, v[15:16], off offset:3276
	;; [unrolled: 1-line block ×6, first 2 shown]
	global_load_b32 v3, v[15:16], off
	global_load_b32 v14, v[15:16], off offset:468
	global_load_b32 v10, v[15:16], off offset:936
	;; [unrolled: 1-line block ×5, first 2 shown]
	s_wait_loadcnt 0xb
	v_lshrrev_b32_e32 v18, 16, v11
	s_wait_loadcnt 0xa
	v_lshrrev_b32_e32 v20, 16, v12
	;; [unrolled: 2-line block ×6, first 2 shown]
.LBB0_11:
	s_wait_alu 0xfffe
	s_or_b32 exec_lo, exec_lo, s1
	s_wait_loadcnt 0x3
	v_sub_f16_e32 v13, v10, v13
	v_sub_f16_e32 v11, v3, v11
	v_lshrrev_b32_e32 v23, 16, v10
	v_lshrrev_b32_e32 v21, 16, v3
	;; [unrolled: 1-line block ×3, first 2 shown]
	v_fma_f16 v25, v10, 2.0, -v13
	s_wait_loadcnt 0x1
	v_lshrrev_b32_e32 v10, 16, v4
	v_fma_f16 v24, v3, 2.0, -v11
	v_lshrrev_b32_e32 v3, 16, v6
	v_sub_f16_e32 v12, v14, v12
	v_sub_f16_e32 v9, v6, v9
	;; [unrolled: 1-line block ×4, first 2 shown]
	s_wait_loadcnt 0x0
	v_sub_f16_e32 v28, v5, v8
	v_sub_f16_e32 v18, v21, v18
	;; [unrolled: 1-line block ×3, first 2 shown]
	v_lshrrev_b32_e32 v26, 16, v5
	v_sub_f16_e32 v20, v22, v20
	v_fma_f16 v14, v14, 2.0, -v12
	v_fma_f16 v30, v10, 2.0, -v15
	v_add_nc_u32_e32 v10, 0x75, v2
	v_sub_f16_e32 v19, v23, v19
	v_fma_f16 v27, v6, 2.0, -v9
	v_add_nc_u32_e32 v6, 0xea, v2
	v_add_nc_u32_e32 v8, 0x15f, v2
	v_fma_f16 v4, v4, 2.0, -v7
	v_fma_f16 v5, v5, 2.0, -v28
	v_add_nc_u32_e32 v32, 0x1d4, v2
	v_fma_f16 v21, v21, 2.0, -v18
	v_sub_f16_e32 v16, v26, v16
	v_fma_f16 v29, v3, 2.0, -v17
	v_lshlrev_b32_e32 v3, 1, v2
	v_lshl_add_u32 v31, v2, 2, 0
	v_pack_b32_f16 v11, v24, v11
	v_pack_b32_f16 v13, v25, v13
	v_add_nc_u32_e32 v25, 0x249, v2
	v_fma_f16 v22, v22, 2.0, -v20
	v_lshl_add_u32 v24, v10, 2, 0
	v_pack_b32_f16 v12, v14, v12
	v_fma_f16 v23, v23, 2.0, -v19
	v_lshl_add_u32 v14, v6, 2, 0
	v_lshl_add_u32 v33, v8, 2, 0
	v_pack_b32_f16 v9, v27, v9
	v_lshl_add_u32 v27, v32, 2, 0
	v_pack_b32_f16 v4, v4, v7
	v_pack_b32_f16 v5, v5, v28
	v_fma_f16 v26, v26, 2.0, -v16
	v_lshl_add_u32 v7, v25, 2, 0
	ds_store_b32 v31, v11
	ds_store_b32 v24, v12
	;; [unrolled: 1-line block ×6, first 2 shown]
	v_sub_nc_u32_e32 v13, v31, v3
	v_pack_b32_f16 v5, v21, v18
	v_pack_b32_f16 v9, v22, v20
	;; [unrolled: 1-line block ×5, first 2 shown]
	global_wb scope:SCOPE_SE
	s_wait_dscnt 0x0
	s_barrier_signal -1
	s_barrier_wait -1
	global_inv scope:SCOPE_SE
	ds_load_u16 v4, v13 offset:1638
	ds_load_u16 v11, v13
	ds_load_u16 v12, v13 offset:234
	ds_load_u16 v28, v13 offset:468
	;; [unrolled: 1-line block ×10, first 2 shown]
	global_wb scope:SCOPE_SE
	s_wait_dscnt 0x0
	s_barrier_signal -1
	s_barrier_wait -1
	global_inv scope:SCOPE_SE
	v_pack_b32_f16 v16, v26, v16
	ds_store_b32 v31, v5
	ds_store_b32 v24, v9
	;; [unrolled: 1-line block ×6, first 2 shown]
	v_and_b32_e32 v14, 1, v2
	v_and_b32_e32 v15, 1, v10
	;; [unrolled: 1-line block ×4, first 2 shown]
	global_wb scope:SCOPE_SE
	s_wait_dscnt 0x0
	v_lshlrev_b32_e32 v5, 2, v14
	v_lshlrev_b32_e32 v7, 2, v15
	;; [unrolled: 1-line block ×4, first 2 shown]
	s_barrier_signal -1
	s_barrier_wait -1
	global_inv scope:SCOPE_SE
	s_clause 0x3
	global_load_b32 v19, v5, s[4:5]
	global_load_b32 v20, v7, s[4:5]
	;; [unrolled: 1-line block ×4, first 2 shown]
	v_lshlrev_b32_e32 v23, 1, v32
	ds_load_u16 v30, v13 offset:1404
	ds_load_u16 v31, v13 offset:1638
	;; [unrolled: 1-line block ×5, first 2 shown]
	ds_load_u16 v45, v13
	ds_load_u16 v46, v13 offset:234
	ds_load_u16 v47, v13 offset:468
	;; [unrolled: 1-line block ×6, first 2 shown]
	v_lshlrev_b32_e32 v5, 1, v10
	v_lshlrev_b32_e32 v7, 1, v6
	;; [unrolled: 1-line block ×4, first 2 shown]
	v_and_or_b32 v25, 0xfc, v3, v14
	v_and_or_b32 v15, 0x1fc, v5, v15
	v_and_b32_e32 v22, 3, v2
	v_and_b32_e32 v27, 3, v10
	;; [unrolled: 1-line block ×3, first 2 shown]
	v_and_or_b32 v29, 0x3fc, v7, v14
	v_and_b32_e32 v42, 3, v8
	v_lshl_add_u32 v25, v25, 1, 0
	v_and_or_b32 v16, 0x3fc, v9, v16
	v_and_or_b32 v14, 0x7fc, v23, v14
	;; [unrolled: 1-line block ×3, first 2 shown]
	v_lshl_add_u32 v15, v15, 1, 0
	v_lshlrev_b32_e32 v26, 3, v22
	v_lshlrev_b32_e32 v23, 3, v27
	;; [unrolled: 1-line block ×3, first 2 shown]
	v_lshl_add_u32 v29, v29, 1, 0
	v_lshl_add_u32 v16, v16, 1, 0
	;; [unrolled: 1-line block ×4, first 2 shown]
	global_wb scope:SCOPE_SE
	s_wait_loadcnt_dscnt 0x0
	s_barrier_signal -1
	s_barrier_wait -1
	global_inv scope:SCOPE_SE
	v_cmp_gt_u32_e64 s0, 0x6c, v2
	v_lshrrev_b32_e32 v52, 16, v19
	v_lshrrev_b32_e32 v53, 16, v20
	v_lshrrev_b32_e32 v54, 16, v21
	v_lshrrev_b32_e32 v55, 16, v18
	s_delay_alu instid0(VALU_DEP_4) | instskip(NEXT) | instid1(VALU_DEP_4)
	v_mul_f16_e32 v56, v30, v52
	v_mul_f16_e32 v58, v31, v53
	;; [unrolled: 1-line block ×12, first 2 shown]
	v_fma_f16 v36, v36, v19, -v56
	v_fma_f16 v4, v4, v20, -v58
	v_fmac_f16_e32 v57, v30, v19
	v_fmac_f16_e32 v53, v31, v20
	v_fma_f16 v20, v38, v19, -v59
	v_fmac_f16_e32 v60, v32, v19
	v_fma_f16 v30, v39, v21, -v61
	v_fmac_f16_e32 v54, v43, v21
	v_fma_f16 v21, v40, v19, -v62
	v_fmac_f16_e32 v52, v44, v19
	v_fma_f16 v19, v41, v18, -v63
	v_fmac_f16_e32 v55, v50, v18
	v_sub_f16_e32 v18, v11, v36
	v_sub_f16_e32 v4, v12, v4
	v_sub_f16_e32 v31, v45, v57
	v_sub_f16_e32 v20, v28, v20
	v_sub_f16_e32 v32, v46, v53
	v_sub_f16_e32 v30, v34, v30
	v_sub_f16_e32 v21, v35, v21
	v_sub_f16_e32 v19, v37, v19
	v_fma_f16 v11, v11, 2.0, -v18
	v_sub_f16_e32 v36, v47, v60
	v_fma_f16 v12, v12, 2.0, -v4
	v_sub_f16_e32 v38, v48, v54
	v_sub_f16_e32 v39, v49, v52
	;; [unrolled: 1-line block ×3, first 2 shown]
	v_fma_f16 v41, v45, 2.0, -v31
	v_fma_f16 v28, v28, 2.0, -v20
	;; [unrolled: 1-line block ×6, first 2 shown]
	ds_store_b16 v25, v11
	ds_store_b16 v25, v18 offset:4
	ds_store_b16 v15, v12
	ds_store_b16 v15, v4 offset:4
	ds_store_b16 v29, v28
	ds_store_b16 v29, v20 offset:4
	ds_store_b16 v16, v34
	ds_store_b16 v16, v30 offset:4
	ds_store_b16 v14, v35
	ds_store_b16 v14, v21 offset:4
	ds_store_b16 v17, v37
	ds_store_b16 v17, v19 offset:4
	v_lshlrev_b32_e32 v4, 3, v42
	v_fma_f16 v44, v47, 2.0, -v36
	v_fma_f16 v45, v48, 2.0, -v38
	;; [unrolled: 1-line block ×4, first 2 shown]
	global_wb scope:SCOPE_SE
	s_wait_dscnt 0x0
	s_barrier_signal -1
	s_barrier_wait -1
	global_inv scope:SCOPE_SE
	ds_load_u16 v21, v13
	ds_load_u16 v19, v13 offset:234
	ds_load_u16 v12, v13 offset:468
	;; [unrolled: 1-line block ×11, first 2 shown]
	global_wb scope:SCOPE_SE
	s_wait_dscnt 0x0
	s_barrier_signal -1
	s_barrier_wait -1
	global_inv scope:SCOPE_SE
	ds_store_b16 v25, v41
	ds_store_b16 v25, v31 offset:4
	ds_store_b16 v15, v43
	ds_store_b16 v15, v32 offset:4
	ds_store_b16 v29, v44
	ds_store_b16 v29, v36 offset:4
	ds_store_b16 v16, v45
	ds_store_b16 v16, v38 offset:4
	ds_store_b16 v14, v46
	ds_store_b16 v14, v39 offset:4
	ds_store_b16 v17, v47
	ds_store_b16 v17, v40 offset:4
	global_wb scope:SCOPE_SE
	s_wait_dscnt 0x0
	s_barrier_signal -1
	s_barrier_wait -1
	global_inv scope:SCOPE_SE
	s_clause 0x3
	global_load_b64 v[29:30], v26, s[4:5] offset:8
	global_load_b64 v[31:32], v23, s[4:5] offset:8
	;; [unrolled: 1-line block ×4, first 2 shown]
	v_lshrrev_b32_e32 v4, 2, v2
	v_lshrrev_b32_e32 v14, 2, v8
	;; [unrolled: 1-line block ×4, first 2 shown]
	s_delay_alu instid0(VALU_DEP_4) | instskip(NEXT) | instid1(VALU_DEP_4)
	v_mul_u32_u24_e32 v4, 12, v4
	v_mul_u32_u24_e32 v17, 12, v14
	s_delay_alu instid0(VALU_DEP_4) | instskip(NEXT) | instid1(VALU_DEP_4)
	v_mul_u32_u24_e32 v11, 12, v11
	v_mul_u32_u24_e32 v16, 12, v15
	s_delay_alu instid0(VALU_DEP_4) | instskip(NEXT) | instid1(VALU_DEP_4)
	v_or_b32_e32 v4, v4, v22
	v_or_b32_e32 v22, v17, v42
	s_delay_alu instid0(VALU_DEP_4) | instskip(NEXT) | instid1(VALU_DEP_4)
	v_or_b32_e32 v11, v11, v27
	v_or_b32_e32 v16, v16, v33
	s_delay_alu instid0(VALU_DEP_4) | instskip(NEXT) | instid1(VALU_DEP_4)
	v_lshl_add_u32 v24, v4, 1, 0
	v_lshl_add_u32 v4, v22, 1, 0
	ds_load_u16 v27, v13 offset:1872
	ds_load_u16 v26, v13
	ds_load_u16 v22, v13 offset:234
	ds_load_u16 v23, v13 offset:468
	;; [unrolled: 1-line block ×10, first 2 shown]
	v_lshl_add_u32 v17, v11, 1, 0
	v_lshl_add_u32 v16, v16, 1, 0
	global_wb scope:SCOPE_SE
	s_wait_loadcnt_dscnt 0x0
	s_barrier_signal -1
	s_barrier_wait -1
	global_inv scope:SCOPE_SE
	v_lshrrev_b32_e32 v34, 16, v31
	v_lshrrev_b32_e32 v11, 16, v29
	;; [unrolled: 1-line block ×8, first 2 shown]
	v_mul_f16_e32 v60, v33, v11
	v_mul_f16_e32 v61, v27, v28
	;; [unrolled: 1-line block ×16, first 2 shown]
	v_fma_f16 v48, v48, v29, -v60
	v_fma_f16 v49, v49, v30, -v61
	;; [unrolled: 1-line block ×3, first 2 shown]
	v_fmac_f16_e32 v39, v41, v31
	v_fma_f16 v47, v54, v32, -v63
	v_fmac_f16_e32 v38, v44, v32
	v_fma_f16 v41, v52, v35, -v64
	;; [unrolled: 2-line block ×3, first 2 shown]
	v_fma_f16 v42, v53, v50, -v66
	v_fmac_f16_e32 v40, v45, v50
	v_fma_f16 v45, v56, v51, -v67
	v_fmac_f16_e32 v43, v33, v29
	v_fmac_f16_e32 v11, v27, v30
	;; [unrolled: 1-line block ×4, first 2 shown]
	v_add_f16_e32 v27, v48, v49
	v_add_f16_e32 v32, v46, v47
	;; [unrolled: 1-line block ×5, first 2 shown]
	v_sub_f16_e32 v31, v43, v11
	v_add_f16_e32 v29, v19, v46
	v_sub_f16_e32 v36, v39, v38
	v_add_f16_e32 v33, v12, v41
	;; [unrolled: 2-line block ×3, first 2 shown]
	v_sub_f16_e32 v53, v40, v34
	v_fmac_f16_e32 v21, -0.5, v27
	v_fmac_f16_e32 v19, -0.5, v32
	;; [unrolled: 1-line block ×4, first 2 shown]
	v_add_f16_e32 v18, v18, v49
	v_add_f16_e32 v30, v29, v47
	;; [unrolled: 1-line block ×4, first 2 shown]
	v_fmamk_f16 v35, v31, 0x3aee, v21
	v_fmac_f16_e32 v21, 0xbaee, v31
	v_fmamk_f16 v33, v36, 0x3aee, v19
	v_fmac_f16_e32 v19, 0xbaee, v36
	;; [unrolled: 2-line block ×4, first 2 shown]
	ds_store_b16 v24, v18
	ds_store_b16 v24, v35 offset:8
	ds_store_b16 v24, v21 offset:16
	ds_store_b16 v17, v30
	ds_store_b16 v17, v33 offset:8
	ds_store_b16 v17, v19 offset:16
	;; [unrolled: 3-line block ×4, first 2 shown]
	global_wb scope:SCOPE_SE
	s_wait_dscnt 0x0
	s_barrier_signal -1
	s_barrier_wait -1
	global_inv scope:SCOPE_SE
                                        ; implicit-def: $vgpr36
	s_and_saveexec_b32 s1, s0
	s_cbranch_execz .LBB0_13
; %bb.12:
	ds_load_u16 v18, v13
	ds_load_u16 v35, v13 offset:216
	ds_load_u16 v21, v13 offset:432
	;; [unrolled: 1-line block ×12, first 2 shown]
.LBB0_13:
	s_wait_alu 0xfffe
	s_or_b32 exec_lo, exec_lo, s1
	v_add_f16_e32 v50, v43, v11
	v_sub_f16_e32 v48, v48, v49
	v_add_f16_e32 v49, v39, v38
	v_add_f16_e32 v43, v26, v43
	v_sub_f16_e32 v46, v46, v47
	v_fmac_f16_e32 v26, -0.5, v50
	v_add_f16_e32 v50, v22, v39
	v_fmac_f16_e32 v22, -0.5, v49
	v_add_f16_e32 v11, v43, v11
	v_add_f16_e32 v47, v37, v28
	;; [unrolled: 1-line block ×3, first 2 shown]
	v_sub_f16_e32 v41, v41, v44
	v_fmamk_f16 v43, v46, 0xbaee, v22
	v_fmac_f16_e32 v22, 0x3aee, v46
	v_add_f16_e32 v46, v40, v34
	v_fmac_f16_e32 v23, -0.5, v47
	v_add_f16_e32 v40, v25, v40
	v_sub_f16_e32 v42, v42, v45
	v_fmamk_f16 v39, v48, 0xbaee, v26
	v_fmac_f16_e32 v25, -0.5, v46
	v_fmac_f16_e32 v26, 0x3aee, v48
	v_add_f16_e32 v38, v50, v38
	v_add_f16_e32 v53, v37, v28
	v_fmamk_f16 v52, v41, 0xbaee, v23
	v_fmac_f16_e32 v23, 0x3aee, v41
	v_add_f16_e32 v49, v40, v34
	v_fmamk_f16 v51, v42, 0xbaee, v25
	v_fmac_f16_e32 v25, 0x3aee, v42
	global_wb scope:SCOPE_SE
	s_wait_dscnt 0x0
	s_barrier_signal -1
	s_barrier_wait -1
	global_inv scope:SCOPE_SE
	ds_store_b16 v24, v11
	ds_store_b16 v24, v39 offset:8
	ds_store_b16 v24, v26 offset:16
	ds_store_b16 v17, v38
	ds_store_b16 v17, v43 offset:8
	ds_store_b16 v17, v22 offset:16
	ds_store_b16 v16, v53
	ds_store_b16 v16, v52 offset:8
	ds_store_b16 v16, v23 offset:16
	ds_store_b16 v4, v49
	ds_store_b16 v4, v51 offset:8
	ds_store_b16 v4, v25 offset:16
	global_wb scope:SCOPE_SE
	s_wait_dscnt 0x0
	s_barrier_signal -1
	s_barrier_wait -1
	global_inv scope:SCOPE_SE
                                        ; implicit-def: $vgpr54
	s_and_saveexec_b32 s1, s0
	s_cbranch_execz .LBB0_15
; %bb.14:
	ds_load_u16 v11, v13
	ds_load_u16 v39, v13 offset:216
	ds_load_u16 v26, v13 offset:432
	;; [unrolled: 1-line block ×12, first 2 shown]
.LBB0_15:
	s_wait_alu 0xfffe
	s_or_b32 exec_lo, exec_lo, s1
	v_and_b32_e32 v4, 0xff, v2
	s_delay_alu instid0(VALU_DEP_1) | instskip(NEXT) | instid1(VALU_DEP_1)
	v_mul_lo_u16 v4, 0xab, v4
	v_lshrrev_b16 v4, 11, v4
	s_delay_alu instid0(VALU_DEP_1) | instskip(SKIP_1) | instid1(VALU_DEP_2)
	v_mul_lo_u16 v16, v4, 12
	v_and_b32_e32 v4, 0xffff, v4
	v_sub_nc_u16 v16, v2, v16
	s_delay_alu instid0(VALU_DEP_1) | instskip(NEXT) | instid1(VALU_DEP_1)
	v_and_b32_e32 v67, 0xff, v16
	v_mul_u32_u24_e32 v16, 12, v67
	s_delay_alu instid0(VALU_DEP_1)
	v_lshlrev_b32_e32 v16, 2, v16
	s_clause 0x2
	global_load_b128 v[55:58], v16, s[4:5] offset:40
	global_load_b128 v[59:62], v16, s[4:5] offset:56
	;; [unrolled: 1-line block ×3, first 2 shown]
	global_wb scope:SCOPE_SE
	s_wait_loadcnt_dscnt 0x0
	s_barrier_signal -1
	s_barrier_wait -1
	global_inv scope:SCOPE_SE
	v_lshrrev_b32_e32 v16, 16, v55
	v_lshrrev_b32_e32 v17, 16, v56
	;; [unrolled: 1-line block ×12, first 2 shown]
	v_mul_f16_e32 v69, v39, v16
	v_mul_f16_e32 v48, v35, v16
	v_mul_f16_e32 v70, v26, v17
	v_mul_f16_e32 v46, v21, v17
	v_mul_f16_e32 v71, v38, v24
	v_mul_f16_e32 v40, v30, v24
	v_mul_f16_e32 v72, v43, v28
	v_mul_f16_e32 v34, v33, v28
	v_mul_f16_e32 v73, v22, v37
	v_mul_f16_e32 v24, v19, v37
	v_mul_f16_e32 v74, v53, v41
	v_mul_f16_e32 v16, v29, v41
	v_mul_f16_e32 v75, v52, v42
	v_mul_f16_e32 v17, v31, v42
	v_mul_f16_e32 v76, v23, v44
	v_mul_f16_e32 v28, v12, v44
	v_mul_f16_e32 v77, v49, v45
	v_mul_f16_e32 v37, v27, v45
	v_mul_f16_e32 v78, v51, v47
	v_mul_f16_e32 v41, v32, v47
	v_mul_f16_e32 v79, v25, v50
	v_mul_f16_e32 v45, v20, v50
	v_mul_f16_e32 v80, v54, v68
	v_mul_f16_e32 v44, v36, v68
	v_fma_f16 v50, v35, v55, -v69
	v_fmac_f16_e32 v48, v39, v55
	v_fma_f16 v47, v21, v56, -v70
	v_fmac_f16_e32 v46, v26, v56
	;; [unrolled: 2-line block ×12, first 2 shown]
	v_lshlrev_b32_e32 v12, 1, v67
	s_and_saveexec_b32 s1, s0
	s_cbranch_execz .LBB0_17
; %bb.16:
	s_delay_alu instid0(VALU_DEP_2)
	v_sub_f16_e32 v23, v48, v44
	v_add_f16_e32 v20, v50, v51
	v_sub_f16_e32 v26, v46, v45
	v_add_f16_e32 v25, v47, v49
	v_sub_f16_e32 v29, v40, v41
	v_mul_f16_e32 v54, 0xb3a8, v23
	v_add_f16_e32 v27, v42, v43
	v_mul_f16_e32 v55, 0x3770, v26
	v_sub_f16_e32 v33, v34, v37
	v_mul_f16_e32 v56, 0xb94e, v29
	v_fmamk_f16 v63, v20, 0xbbc4, v54
	v_fma_f16 v54, v20, 0xbbc4, -v54
	v_fmamk_f16 v64, v25, 0x3b15, v55
	v_mul_f16_e32 v60, 0xb94e, v23
	v_fmamk_f16 v65, v27, 0xb9fd, v56
	v_add_f16_e32 v63, v18, v63
	v_fma_f16 v55, v25, 0x3b15, -v55
	v_add_f16_e32 v54, v18, v54
	v_add_f16_e32 v32, v38, v39
	v_sub_f16_e32 v36, v24, v28
	v_add_f16_e32 v63, v64, v63
	v_mul_f16_e32 v57, 0x3a95, v33
	v_mul_f16_e32 v61, 0x3bf1, v26
	v_fma_f16 v56, v27, 0xb9fd, -v56
	v_add_f16_e32 v54, v55, v54
	v_add_f16_e32 v55, v65, v63
	v_fmamk_f16 v63, v20, 0xb9fd, v60
	v_add_f16_e32 v35, v30, v31
	v_mul_f16_e32 v58, 0xbb7b, v36
	v_mul_f16_e32 v62, 0xba95, v29
	v_fmamk_f16 v66, v32, 0x388b, v57
	v_fma_f16 v57, v32, 0x388b, -v57
	v_fmamk_f16 v64, v25, 0x2fb7, v61
	v_add_f16_e32 v54, v56, v54
	v_add_f16_e32 v56, v18, v63
	v_sub_f16_e32 v53, v16, v17
	v_fmamk_f16 v67, v35, 0xb5ac, v58
	v_fma_f16 v58, v35, 0xb5ac, -v58
	v_add_f16_e32 v54, v57, v54
	v_add_f16_e32 v56, v64, v56
	v_fmamk_f16 v57, v27, 0x388b, v62
	v_mul_f16_e32 v63, 0x33a8, v33
	v_add_f16_e32 v52, v21, v22
	v_mul_f16_e32 v59, 0x3bf1, v53
	v_add_f16_e32 v54, v58, v54
	v_fma_f16 v58, v20, 0xb9fd, -v60
	v_add_f16_e32 v56, v57, v56
	v_fmamk_f16 v57, v32, 0xbbc4, v63
	v_mul_f16_e32 v60, 0x3770, v36
	v_fmamk_f16 v68, v52, 0x2fb7, v59
	v_fma_f16 v59, v52, 0x2fb7, -v59
	v_add_f16_e32 v58, v18, v58
	v_fma_f16 v61, v25, 0x2fb7, -v61
	v_add_f16_e32 v56, v57, v56
	v_fmamk_f16 v57, v35, 0x3b15, v60
	v_mul_f16_e32 v64, 0xbb7b, v23
	v_add_f16_e32 v54, v59, v54
	v_add_f16_e32 v58, v61, v58
	v_fma_f16 v59, v27, 0x388b, -v62
	v_add_f16_e32 v56, v57, v56
	v_fmamk_f16 v57, v20, 0xb5ac, v64
	v_mul_f16_e32 v61, 0x394e, v26
	v_mul_f16_e32 v65, 0x3770, v29
	v_add_f16_e32 v58, v59, v58
	v_fma_f16 v59, v32, 0xbbc4, -v63
	v_add_f16_e32 v57, v18, v57
	v_fmamk_f16 v63, v25, 0xb9fd, v61
	v_mul_f16_e32 v62, 0xbb7b, v53
	v_add_f16_e32 v55, v66, v55
	v_add_f16_e32 v58, v59, v58
	v_fma_f16 v59, v35, 0x3b15, -v60
	v_add_f16_e32 v57, v63, v57
	v_fmamk_f16 v60, v27, 0x3b15, v65
	v_mul_f16_e32 v63, 0xbbf1, v33
	v_fmamk_f16 v66, v52, 0xb5ac, v62
	v_add_f16_e32 v58, v59, v58
	v_fma_f16 v59, v20, 0xb5ac, -v64
	v_add_f16_e32 v57, v60, v57
	v_fmamk_f16 v60, v32, 0x2fb7, v63
	v_mul_f16_e32 v64, 0x33a8, v36
	v_add_f16_e32 v56, v66, v56
	v_fma_f16 v62, v52, 0xb5ac, -v62
	v_add_f16_e32 v59, v18, v59
	v_fma_f16 v61, v25, 0xb9fd, -v61
	v_add_f16_e32 v57, v60, v57
	v_fmamk_f16 v60, v35, 0xbbc4, v64
	v_mul_f16_e32 v66, 0xbbf1, v23
	v_add_f16_e32 v58, v62, v58
	v_add_f16_e32 v59, v61, v59
	v_fma_f16 v61, v27, 0x3b15, -v65
	v_add_f16_e32 v57, v60, v57
	v_fmamk_f16 v60, v20, 0x2fb7, v66
	v_mul_f16_e32 v62, 0xb3a8, v26
	v_add_f16_e32 v55, v67, v55
	v_add_f16_e32 v59, v61, v59
	v_fma_f16 v61, v32, 0x2fb7, -v63
	v_add_f16_e32 v60, v18, v60
	v_fmamk_f16 v63, v25, 0xbbc4, v62
	v_mul_f16_e32 v67, 0x3b7b, v29
	v_mul_f16_e32 v65, 0x3a95, v53
	v_add_f16_e32 v59, v61, v59
	v_fma_f16 v61, v35, 0xbbc4, -v64
	v_add_f16_e32 v60, v63, v60
	v_fmamk_f16 v63, v27, 0xb5ac, v67
	v_mul_f16_e32 v64, 0x3770, v33
	v_add_f16_e32 v55, v68, v55
	v_fmamk_f16 v68, v52, 0x388b, v65
	v_add_f16_e32 v59, v61, v59
	v_fma_f16 v61, v20, 0x2fb7, -v66
	v_add_f16_e32 v60, v63, v60
	v_fmamk_f16 v63, v32, 0x3b15, v64
	v_mul_f16_e32 v66, 0xba95, v36
	v_fma_f16 v65, v52, 0x388b, -v65
	v_add_f16_e32 v61, v18, v61
	v_fma_f16 v62, v25, 0xbbc4, -v62
	v_add_f16_e32 v60, v63, v60
	v_fmamk_f16 v63, v35, 0x388b, v66
	v_add_f16_e32 v59, v65, v59
	v_mul_f16_e32 v65, 0xba95, v23
	v_add_f16_e32 v19, v18, v50
	v_add_f16_e32 v57, v68, v57
	;; [unrolled: 1-line block ×3, first 2 shown]
	v_fma_f16 v62, v27, 0xb5ac, -v67
	v_add_f16_e32 v60, v63, v60
	v_mul_f16_e32 v63, 0xb94e, v53
	v_fmamk_f16 v67, v20, 0x388b, v65
	v_mul_f16_e32 v68, 0xbb7b, v26
	v_add_f16_e32 v19, v19, v47
	v_add_f16_e32 v61, v62, v61
	v_fma_f16 v62, v32, 0x3b15, -v64
	v_fmamk_f16 v64, v52, 0xb9fd, v63
	v_add_f16_e32 v67, v18, v67
	v_fmamk_f16 v69, v25, 0xb5ac, v68
	v_mul_f16_e32 v70, 0xb3a8, v29
	v_add_f16_e32 v19, v19, v42
	v_add_f16_e32 v61, v62, v61
	v_fma_f16 v62, v35, 0x388b, -v66
	v_add_f16_e32 v60, v64, v60
	v_add_f16_e32 v64, v69, v67
	v_fmamk_f16 v66, v27, 0xbbc4, v70
	v_mul_f16_e32 v67, 0x394e, v33
	v_add_f16_e32 v19, v19, v38
	v_add_f16_e32 v61, v62, v61
	v_fma_f16 v62, v52, 0xb9fd, -v63
	v_fma_f16 v63, v20, 0x388b, -v65
	v_add_f16_e32 v64, v66, v64
	v_fmamk_f16 v65, v32, 0xb9fd, v67
	v_mul_f16_e32 v66, 0x3bf1, v36
	v_add_f16_e32 v19, v19, v30
	v_add_f16_e32 v61, v62, v61
	;; [unrolled: 1-line block ×3, first 2 shown]
	v_fma_f16 v63, v25, 0xb5ac, -v68
	v_add_f16_e32 v64, v65, v64
	v_fmamk_f16 v65, v35, 0x2fb7, v66
	v_mul_f16_e32 v23, 0xb770, v23
	v_add_f16_e32 v19, v19, v21
	v_add_f16_e32 v62, v63, v62
	v_fma_f16 v63, v27, 0xbbc4, -v70
	v_add_f16_e32 v64, v65, v64
	v_fma_f16 v65, v20, 0x3b15, -v23
	v_mul_f16_e32 v26, 0xba95, v26
	v_add_f16_e32 v19, v19, v22
	v_add_f16_e32 v62, v63, v62
	v_fmamk_f16 v20, v20, 0x3b15, v23
	v_add_f16_e32 v23, v18, v65
	v_fma_f16 v63, v25, 0x388b, -v26
	v_mul_f16_e32 v29, 0xbbf1, v29
	v_add_f16_e32 v19, v19, v31
	v_add_f16_e32 v18, v18, v20
	v_fmamk_f16 v20, v25, 0x388b, v26
	v_add_f16_e32 v23, v63, v23
	v_fma_f16 v25, v27, 0x2fb7, -v29
	v_mul_f16_e32 v26, 0xbb7b, v33
	v_fma_f16 v65, v32, 0xb9fd, -v67
	v_add_f16_e32 v19, v19, v39
	v_add_f16_e32 v18, v20, v18
	v_fmamk_f16 v20, v27, 0x2fb7, v29
	v_add_f16_e32 v23, v25, v23
	v_fma_f16 v25, v32, 0xb5ac, -v26
	v_mul_f16_e32 v27, 0xb94e, v36
	v_add_f16_e32 v33, v65, v62
	v_fma_f16 v29, v35, 0x2fb7, -v66
	v_add_f16_e32 v19, v19, v43
	v_add_f16_e32 v18, v20, v18
	v_fmamk_f16 v20, v32, 0xb5ac, v26
	v_add_f16_e32 v23, v25, v23
	v_fma_f16 v25, v35, 0xb9fd, -v27
	v_add_f16_e32 v26, v29, v33
	v_mul_f16_e32 v29, 0xb3a8, v53
	v_mul_f16_e32 v68, 0x3770, v53
	v_add_f16_e32 v19, v19, v49
	v_add_f16_e32 v18, v20, v18
	v_fmamk_f16 v20, v35, 0xb9fd, v27
	v_add_f16_e32 v23, v25, v23
	v_mul_u32_u24_e32 v25, 0x138, v4
	v_fma_f16 v27, v52, 0xbbc4, -v29
	v_fma_f16 v32, v52, 0x3b15, -v68
	v_add_f16_e32 v19, v19, v51
	v_fmamk_f16 v69, v52, 0x3b15, v68
	v_add_f16_e32 v18, v20, v18
	v_fmamk_f16 v20, v52, 0xbbc4, v29
	v_add3_u32 v25, 0, v25, v12
	v_add_f16_e32 v23, v27, v23
	v_add_f16_e32 v26, v32, v26
	;; [unrolled: 1-line block ×4, first 2 shown]
	ds_store_b16 v25, v19
	ds_store_b16 v25, v23 offset:24
	ds_store_b16 v25, v26 offset:48
	;; [unrolled: 1-line block ×12, first 2 shown]
.LBB0_17:
	s_wait_alu 0xfffe
	s_or_b32 exec_lo, exec_lo, s1
	global_wb scope:SCOPE_SE
	s_wait_dscnt 0x0
	s_barrier_signal -1
	s_barrier_wait -1
	global_inv scope:SCOPE_SE
	ds_load_u16 v23, v13
	ds_load_u16 v20, v13 offset:234
	ds_load_u16 v18, v13 offset:468
	;; [unrolled: 1-line block ×11, first 2 shown]
	global_wb scope:SCOPE_SE
	s_wait_dscnt 0x0
	s_barrier_signal -1
	s_barrier_wait -1
	global_inv scope:SCOPE_SE
	s_and_saveexec_b32 s1, s0
	s_cbranch_execz .LBB0_19
; %bb.18:
	v_add_f16_e32 v52, v11, v48
	v_sub_f16_e32 v50, v50, v51
	v_add_f16_e32 v51, v46, v45
	v_add_f16_e32 v48, v48, v44
	v_sub_f16_e32 v47, v47, v49
	v_add_f16_e32 v46, v52, v46
	v_mul_f16_e32 v49, 0xb770, v50
	v_mul_f16_e32 v52, 0xba95, v50
	;; [unrolled: 1-line block ×4, first 2 shown]
	v_add_f16_e32 v46, v46, v40
	v_mul_f16_e32 v55, 0xb94e, v50
	v_mul_f16_e32 v50, 0xb3a8, v50
	;; [unrolled: 1-line block ×4, first 2 shown]
	v_add_f16_e32 v46, v46, v34
	v_fmamk_f16 v60, v48, 0x3b15, v49
	v_fma_f16 v49, v48, 0x3b15, -v49
	v_fmamk_f16 v61, v48, 0x388b, v52
	v_fma_f16 v52, v48, 0x388b, -v52
	v_add_f16_e32 v46, v46, v24
	v_mul_f16_e32 v58, 0xb3a8, v47
	v_mul_f16_e32 v59, 0x394e, v47
	v_fmamk_f16 v62, v48, 0x2fb7, v53
	v_fma_f16 v53, v48, 0x2fb7, -v53
	v_add_f16_e32 v46, v46, v16
	v_fmamk_f16 v63, v48, 0xb5ac, v54
	v_fma_f16 v54, v48, 0xb5ac, -v54
	v_fmamk_f16 v64, v48, 0xb9fd, v55
	v_fma_f16 v55, v48, 0xb9fd, -v55
	v_add_f16_e32 v46, v46, v17
	v_fmamk_f16 v65, v48, 0xbbc4, v50
	v_fma_f16 v48, v48, 0xbbc4, -v50
	;; [unrolled: 5-line block ×3, first 2 shown]
	v_add_f16_e32 v60, v11, v60
	v_add_f16_e32 v49, v11, v49
	;; [unrolled: 1-line block ×17, first 2 shown]
	v_fmamk_f16 v50, v51, 0xbbc4, v58
	v_add_f16_e32 v52, v57, v52
	v_fma_f16 v56, v51, 0xbbc4, -v58
	v_fmamk_f16 v57, v51, 0xb9fd, v59
	v_fma_f16 v58, v51, 0xb9fd, -v59
	v_mul_f16_e32 v59, 0x3bf1, v47
	v_sub_f16_e32 v42, v42, v43
	v_add_f16_e32 v53, v56, v53
	v_add_f16_e32 v56, v57, v63
	v_mul_f16_e32 v47, 0x3770, v47
	v_fma_f16 v57, v51, 0x2fb7, -v59
	v_add_f16_e32 v40, v40, v41
	v_mul_f16_e32 v41, 0xbbf1, v42
	v_add_f16_e32 v54, v58, v54
	v_fmamk_f16 v43, v51, 0x2fb7, v59
	v_fmamk_f16 v58, v51, 0x3b15, v47
	v_fma_f16 v47, v51, 0x3b15, -v47
	v_add_f16_e32 v51, v57, v55
	v_fmamk_f16 v55, v40, 0x2fb7, v41
	v_mul_f16_e32 v57, 0xb3a8, v42
	v_add_f16_e32 v44, v45, v44
	v_add_f16_e32 v45, v66, v61
	;; [unrolled: 1-line block ×4, first 2 shown]
	v_fmamk_f16 v48, v40, 0xbbc4, v57
	v_mul_f16_e32 v55, 0x3b7b, v42
	v_add_f16_e32 v50, v50, v62
	v_fma_f16 v41, v40, 0x2fb7, -v41
	v_sub_f16_e32 v38, v38, v39
	v_add_f16_e32 v45, v48, v45
	v_fmamk_f16 v48, v40, 0xb5ac, v55
	v_add_f16_e32 v43, v43, v64
	v_fma_f16 v57, v40, 0xbbc4, -v57
	v_add_f16_e32 v41, v41, v49
	v_mul_f16_e32 v49, 0x3770, v42
	v_add_f16_e32 v48, v48, v50
	v_mul_f16_e32 v50, 0xba95, v42
	v_mul_f16_e32 v42, 0xb94e, v42
	v_add_f16_e32 v34, v34, v37
	v_mul_f16_e32 v37, 0xbb7b, v38
	v_add_f16_e32 v46, v58, v46
	v_fmamk_f16 v39, v40, 0x388b, v50
	v_fma_f16 v50, v40, 0x388b, -v50
	v_add_f16_e32 v52, v57, v52
	v_fma_f16 v55, v40, 0xb5ac, -v55
	v_fmamk_f16 v57, v40, 0x3b15, v49
	v_fma_f16 v49, v40, 0x3b15, -v49
	v_add_f16_e32 v39, v39, v43
	v_fmamk_f16 v43, v40, 0xb9fd, v42
	v_fma_f16 v40, v40, 0xb9fd, -v42
	v_add_f16_e32 v42, v50, v51
	v_fmamk_f16 v50, v34, 0xb5ac, v37
	v_mul_f16_e32 v51, 0x394e, v38
	v_add_f16_e32 v43, v43, v46
	v_add_f16_e32 v11, v40, v11
	v_fma_f16 v37, v34, 0xb5ac, -v37
	v_add_f16_e32 v40, v50, v47
	v_fmamk_f16 v46, v34, 0xb9fd, v51
	v_mul_f16_e32 v47, 0x3770, v38
	v_sub_f16_e32 v30, v30, v31
	v_add_f16_e32 v37, v37, v41
	v_mul_f16_e32 v41, 0xbbf1, v38
	v_add_f16_e32 v45, v46, v45
	v_fmamk_f16 v46, v34, 0x3b15, v47
	v_add_f16_e32 v24, v24, v28
	v_mul_f16_e32 v28, 0xb94e, v30
	v_fma_f16 v50, v34, 0xb9fd, -v51
	v_fma_f16 v47, v34, 0x3b15, -v47
	v_add_f16_e32 v46, v46, v48
	v_mul_f16_e32 v48, 0x33a8, v38
	v_mul_f16_e32 v38, 0x3a95, v38
	v_fmamk_f16 v51, v34, 0x2fb7, v41
	v_fma_f16 v41, v34, 0x2fb7, -v41
	v_add_f16_e32 v49, v49, v54
	v_fmamk_f16 v31, v34, 0xbbc4, v48
	v_fma_f16 v48, v34, 0xbbc4, -v48
	v_sub_f16_e32 v21, v21, v22
	v_mul_f16_e32 v22, 0xbb7b, v30
	v_add_f16_e32 v41, v41, v49
	v_add_f16_e32 v31, v31, v39
	v_fmamk_f16 v39, v34, 0x388b, v38
	v_add_f16_e32 v42, v48, v42
	v_fma_f16 v34, v34, 0x388b, -v38
	v_fmamk_f16 v38, v24, 0xb9fd, v28
	v_mul_f16_e32 v48, 0x3bf1, v30
	v_add_f16_e32 v39, v39, v43
	v_fma_f16 v28, v24, 0xb9fd, -v28
	v_add_f16_e32 v11, v34, v11
	v_add_f16_e32 v34, v38, v40
	v_fmamk_f16 v38, v24, 0x2fb7, v48
	v_mul_f16_e32 v40, 0xba95, v30
	v_mul_f16_e32 v43, 0x33a8, v30
	v_add_f16_e32 v28, v28, v37
	v_fma_f16 v37, v24, 0x2fb7, -v48
	v_add_f16_e32 v38, v38, v45
	v_fmamk_f16 v45, v24, 0x388b, v40
	v_fmamk_f16 v48, v24, 0xbbc4, v43
	v_fma_f16 v43, v24, 0xbbc4, -v43
	v_add_f16_e32 v16, v16, v17
	v_mul_f16_e32 v17, 0xb3a8, v21
	v_add_f16_e32 v45, v45, v46
	v_mul_f16_e32 v46, 0x3770, v30
	v_add_f16_e32 v53, v55, v53
	v_fma_f16 v40, v24, 0x388b, -v40
	v_add_f16_e32 v41, v43, v41
	v_add_f16_e32 v50, v50, v52
	v_fmamk_f16 v30, v24, 0x3b15, v46
	v_fma_f16 v43, v24, 0x3b15, -v46
	v_fmamk_f16 v46, v24, 0xb5ac, v22
	v_fma_f16 v22, v24, 0xb5ac, -v22
	v_fmamk_f16 v24, v16, 0xbbc4, v17
	v_add_f16_e32 v47, v47, v53
	v_add_f16_e32 v30, v30, v31
	;; [unrolled: 1-line block ×3, first 2 shown]
	v_mul_f16_e32 v42, 0x3770, v21
	v_fma_f16 v17, v16, 0xbbc4, -v17
	v_add_f16_e32 v11, v22, v11
	v_add_f16_e32 v22, v24, v34
	v_mul_f16_e32 v24, 0xb94e, v21
	v_add_f16_e32 v55, v57, v56
	v_add_f16_e32 v37, v37, v50
	;; [unrolled: 1-line block ×3, first 2 shown]
	v_fmamk_f16 v34, v16, 0x3b15, v42
	v_add_f16_e32 v17, v17, v28
	v_fma_f16 v28, v16, 0x3b15, -v42
	v_mul_f16_e32 v42, 0x3a95, v21
	v_fmamk_f16 v43, v16, 0xb9fd, v24
	v_fma_f16 v24, v16, 0xb9fd, -v24
	v_add_f16_e32 v51, v51, v55
	v_add_f16_e32 v28, v28, v37
	v_fmamk_f16 v37, v16, 0x388b, v42
	v_fma_f16 v42, v16, 0x388b, -v42
	v_add_f16_e32 v24, v24, v40
	v_mul_f16_e32 v40, 0xbb7b, v21
	v_mul_f16_e32 v21, 0x3bf1, v21
	v_mul_u32_u24_e32 v4, 0x138, v4
	v_add_f16_e32 v47, v48, v51
	v_add_f16_e32 v39, v46, v39
	;; [unrolled: 1-line block ×5, first 2 shown]
	v_fmamk_f16 v42, v16, 0xb5ac, v40
	v_fma_f16 v40, v16, 0xb5ac, -v40
	v_fmamk_f16 v43, v16, 0x2fb7, v21
	v_fma_f16 v16, v16, 0x2fb7, -v21
	v_add3_u32 v4, 0, v4, v12
	v_add_f16_e32 v37, v37, v47
	v_add_f16_e32 v12, v42, v30
	;; [unrolled: 1-line block ×5, first 2 shown]
	ds_store_b16 v4, v44
	ds_store_b16 v4, v22 offset:24
	ds_store_b16 v4, v34 offset:48
	;; [unrolled: 1-line block ×12, first 2 shown]
.LBB0_19:
	s_wait_alu 0xfffe
	s_or_b32 exec_lo, exec_lo, s1
	v_subrev_nc_u32_e32 v11, 39, v2
	v_cmp_gt_u32_e64 s0, 39, v2
	v_lshrrev_b16 v16, 2, v6
	v_lshrrev_b16 v17, 2, v8
	global_wb scope:SCOPE_SE
	s_wait_dscnt 0x0
	s_barrier_signal -1
	s_wait_alu 0xf1ff
	v_cndmask_b32_e64 v10, v11, v10, s0
	v_mov_b32_e32 v4, 0
	v_and_b32_e32 v24, 0xffff, v17
	s_barrier_wait -1
	global_inv scope:SCOPE_SE
	v_lshlrev_b64_e32 v[11:12], 2, v[3:4]
	v_lshlrev_b32_e32 v3, 1, v10
	v_and_b32_e32 v10, 0xffff, v16
	v_mul_u32_u24_e32 v24, 0xd21, v24
	s_delay_alu instid0(VALU_DEP_4) | instskip(NEXT) | instid1(VALU_DEP_3)
	v_add_co_u32 v11, s0, s4, v11
	v_mul_u32_u24_e32 v10, 0xd21, v10
	s_wait_alu 0xf1ff
	v_add_co_ci_u32_e64 v12, s0, s5, v12, s0
	v_lshlrev_b64_e32 v[16:17], 2, v[3:4]
	v_lshrrev_b32_e32 v24, 17, v24
	v_lshrrev_b32_e32 v10, 17, v10
	global_load_b64 v[21:22], v[11:12], off offset:616
	v_mul_lo_u16 v24, 0x9c, v24
	v_mul_lo_u16 v28, 0x9c, v10
	v_add_co_u32 v16, s0, s4, v16
	s_wait_alu 0xf1ff
	v_add_co_ci_u32_e64 v17, s0, s5, v17, s0
	s_delay_alu instid0(VALU_DEP_3)
	v_sub_nc_u16 v6, v6, v28
	v_sub_nc_u16 v8, v8, v24
	v_cmp_lt_u32_e64 s0, 38, v2
	global_load_b64 v[16:17], v[16:17], off offset:616
	v_mul_u32_u24_e32 v10, 0x3a8, v10
	v_and_b32_e32 v6, 0xffff, v6
	v_and_b32_e32 v8, 0xffff, v8
	s_wait_alu 0xf1ff
	v_cndmask_b32_e64 v44, 0, 0x3a8, s0
	s_delay_alu instid0(VALU_DEP_3) | instskip(NEXT) | instid1(VALU_DEP_3)
	v_lshlrev_b32_e32 v24, 3, v6
	v_lshlrev_b32_e32 v28, 3, v8
	s_clause 0x1
	global_load_b64 v[30:31], v24, s[4:5] offset:616
	global_load_b64 v[37:38], v28, s[4:5] offset:616
	ds_load_u16 v24, v13 offset:1872
	ds_load_u16 v28, v13
	ds_load_u16 v34, v13 offset:234
	ds_load_u16 v39, v13 offset:468
	;; [unrolled: 1-line block ×10, first 2 shown]
	v_add3_u32 v3, 0, v44, v3
	v_lshlrev_b32_e32 v6, 1, v6
	global_wb scope:SCOPE_SE
	s_wait_loadcnt_dscnt 0x0
	s_barrier_signal -1
	s_barrier_wait -1
	global_inv scope:SCOPE_SE
	v_add3_u32 v6, 0, v10, v6
	v_lshl_add_u32 v8, v8, 1, 0
	v_lshrrev_b32_e32 v44, 16, v21
	v_lshrrev_b32_e32 v49, 16, v22
	s_delay_alu instid0(VALU_DEP_2) | instskip(SKIP_1) | instid1(VALU_DEP_3)
	v_mul_f16_e32 v50, v40, v44
	v_mul_f16_e32 v10, v36, v44
	;; [unrolled: 1-line block ×4, first 2 shown]
	s_delay_alu instid0(VALU_DEP_4) | instskip(NEXT) | instid1(VALU_DEP_4)
	v_fma_f16 v36, v36, v21, -v50
	v_fmac_f16_e32 v10, v40, v21
	v_lshrrev_b32_e32 v50, 16, v16
	v_lshrrev_b32_e32 v21, 16, v17
	v_fma_f16 v35, v35, v22, -v44
	v_fmac_f16_e32 v49, v24, v22
	v_add_f16_e32 v52, v28, v10
	v_mul_f16_e32 v22, v41, v50
	v_mul_f16_e32 v24, v32, v50
	;; [unrolled: 1-line block ×3, first 2 shown]
	v_add_f16_e32 v50, v36, v35
	v_sub_f16_e32 v51, v10, v49
	v_add_f16_e32 v10, v10, v49
	v_mul_f16_e32 v21, v33, v21
	v_add_f16_e32 v44, v23, v36
	v_sub_f16_e32 v36, v36, v35
	v_fma_f16 v22, v32, v16, -v22
	v_fmac_f16_e32 v24, v41, v16
	v_fma_f16 v16, v33, v17, -v40
	v_fmac_f16_e32 v23, -0.5, v50
	v_fmac_f16_e32 v28, -0.5, v10
	v_lshrrev_b32_e32 v10, 16, v30
	v_lshrrev_b32_e32 v33, 16, v31
	v_fmac_f16_e32 v21, v46, v17
	v_add_f16_e32 v17, v44, v35
	v_lshrrev_b32_e32 v35, 16, v37
	v_lshrrev_b32_e32 v40, 16, v38
	v_add_f16_e32 v32, v52, v49
	v_fmamk_f16 v41, v51, 0x3aee, v23
	v_fmac_f16_e32 v23, 0xbaee, v51
	v_fmamk_f16 v44, v36, 0xbaee, v28
	v_fmac_f16_e32 v28, 0x3aee, v36
	v_add_f16_e32 v36, v20, v22
	v_add_f16_e32 v50, v34, v24
	v_mul_f16_e32 v51, v42, v10
	v_mul_f16_e32 v52, v47, v33
	v_sub_f16_e32 v49, v24, v21
	v_add_f16_e32 v24, v24, v21
	v_mul_f16_e32 v10, v26, v10
	v_mul_f16_e32 v33, v29, v33
	;; [unrolled: 1-line block ×6, first 2 shown]
	v_add_f16_e32 v46, v22, v16
	v_sub_f16_e32 v22, v22, v16
	v_add_f16_e32 v16, v36, v16
	v_add_f16_e32 v36, v50, v21
	ds_store_b16 v13, v17
	ds_store_b16 v13, v41 offset:312
	ds_store_b16 v13, v23 offset:624
	v_fma_f16 v17, v26, v30, -v51
	v_fma_f16 v21, v29, v31, -v52
	v_fmac_f16_e32 v34, -0.5, v24
	v_fmac_f16_e32 v10, v42, v30
	v_fmac_f16_e32 v33, v47, v31
	v_fma_f16 v23, v25, v37, -v53
	v_fma_f16 v24, v27, v38, -v54
	v_fmac_f16_e32 v35, v43, v37
	v_fmac_f16_e32 v40, v48, v38
	v_fmac_f16_e32 v20, -0.5, v46
	v_add_f16_e32 v26, v17, v21
	v_sub_f16_e32 v27, v10, v33
	v_add_f16_e32 v30, v39, v10
	v_add_f16_e32 v10, v10, v33
	;; [unrolled: 1-line block ×3, first 2 shown]
	v_fmamk_f16 v29, v22, 0xbaee, v34
	v_fmac_f16_e32 v34, 0x3aee, v22
	v_add_f16_e32 v22, v18, v17
	v_sub_f16_e32 v38, v35, v40
	v_add_f16_e32 v41, v45, v35
	v_add_f16_e32 v35, v35, v40
	v_fmamk_f16 v25, v49, 0x3aee, v20
	v_fmac_f16_e32 v18, -0.5, v26
	v_fmac_f16_e32 v20, 0xbaee, v49
	v_add_f16_e32 v31, v19, v23
	v_sub_f16_e32 v17, v17, v21
	v_fmac_f16_e32 v39, -0.5, v10
	v_fmac_f16_e32 v19, -0.5, v37
	v_sub_f16_e32 v23, v23, v24
	ds_store_b16 v3, v16
	ds_store_b16 v3, v25 offset:312
	ds_store_b16 v3, v20 offset:624
	v_add_f16_e32 v16, v22, v21
	v_fmac_f16_e32 v45, -0.5, v35
	v_fmamk_f16 v20, v27, 0x3aee, v18
	v_fmac_f16_e32 v18, 0xbaee, v27
	v_add_f16_e32 v10, v31, v24
	v_add_f16_e32 v30, v30, v33
	v_fmamk_f16 v33, v17, 0xbaee, v39
	v_fmac_f16_e32 v39, 0x3aee, v17
	v_fmamk_f16 v17, v38, 0x3aee, v19
	v_fmac_f16_e32 v19, 0xbaee, v38
	;; [unrolled: 2-line block ×3, first 2 shown]
	ds_store_b16 v6, v16
	ds_store_b16 v6, v20 offset:312
	ds_store_b16 v6, v18 offset:624
	;; [unrolled: 1-line block ×5, first 2 shown]
	global_wb scope:SCOPE_SE
	s_wait_dscnt 0x0
	s_barrier_signal -1
	s_barrier_wait -1
	global_inv scope:SCOPE_SE
	ds_load_u16 v16, v13
	ds_load_u16 v17, v13 offset:234
	ds_load_u16 v18, v13 offset:468
	;; [unrolled: 1-line block ×11, first 2 shown]
	v_add_f16_e32 v31, v41, v40
	global_wb scope:SCOPE_SE
	s_wait_dscnt 0x0
	s_barrier_signal -1
	s_barrier_wait -1
	global_inv scope:SCOPE_SE
	ds_store_b16 v13, v32
	ds_store_b16 v13, v44 offset:312
	ds_store_b16 v13, v28 offset:624
	ds_store_b16 v3, v36
	ds_store_b16 v3, v29 offset:312
	ds_store_b16 v3, v34 offset:624
	;; [unrolled: 3-line block ×3, first 2 shown]
	ds_store_b16 v8, v31 offset:1872
	ds_store_b16 v8, v35 offset:2184
	ds_store_b16 v8, v45 offset:2496
	global_wb scope:SCOPE_SE
	s_wait_dscnt 0x0
	s_barrier_signal -1
	s_barrier_wait -1
	global_inv scope:SCOPE_SE
	s_and_saveexec_b32 s0, vcc_lo
	s_cbranch_execz .LBB0_21
; %bb.20:
	v_dual_mov_b32 v10, v4 :: v_dual_mov_b32 v3, v4
	v_mov_b32_e32 v8, v4
	v_mov_b32_e32 v6, v4
	v_mul_hi_u32 v15, 0x46046047, v15
	s_delay_alu instid0(VALU_DEP_4) | instskip(SKIP_3) | instid1(VALU_DEP_4)
	v_lshlrev_b64_e32 v[9:10], 2, v[9:10]
	v_mul_hi_u32 v36, 0x46046047, v14
	v_lshlrev_b64_e32 v[7:8], 2, v[7:8]
	v_lshlrev_b64_e32 v[5:6], 2, v[5:6]
	v_add_co_u32 v9, vcc_lo, s4, v9
	s_wait_alu 0xfffd
	v_add_co_ci_u32_e32 v10, vcc_lo, s5, v10, vcc_lo
	s_delay_alu instid0(VALU_DEP_4)
	v_add_co_u32 v7, vcc_lo, s4, v7
	s_wait_alu 0xfffd
	v_add_co_ci_u32_e32 v8, vcc_lo, s5, v8, vcc_lo
	v_add_co_u32 v5, vcc_lo, s4, v5
	s_wait_alu 0xfffd
	v_add_co_ci_u32_e32 v6, vcc_lo, s5, v6, vcc_lo
	s_clause 0x3
	global_load_b64 v[9:10], v[9:10], off offset:1864
	global_load_b64 v[7:8], v[7:8], off offset:1864
	global_load_b64 v[5:6], v[5:6], off offset:1864
	global_load_b64 v[11:12], v[11:12], off offset:1864
	ds_load_u16 v28, v13 offset:1638
	ds_load_u16 v29, v13 offset:1404
	;; [unrolled: 1-line block ×8, first 2 shown]
	v_lshrrev_b32_e32 v15, 5, v15
	ds_load_u16 v37, v13 offset:702
	ds_load_u16 v38, v13 offset:468
	;; [unrolled: 1-line block ×3, first 2 shown]
	ds_load_u16 v40, v13
	v_lshlrev_b64_e32 v[13:14], 2, v[2:3]
	v_lshrrev_b32_e32 v2, 5, v36
	v_mul_u32_u24_e32 v3, 0x3a8, v15
	v_add_co_u32 v15, vcc_lo, s8, v0
	s_wait_alu 0xfffd
	v_add_co_ci_u32_e32 v36, vcc_lo, s9, v1, vcc_lo
	s_delay_alu instid0(VALU_DEP_3) | instskip(SKIP_4) | instid1(VALU_DEP_3)
	v_lshlrev_b64_e32 v[0:1], 2, v[3:4]
	v_mul_u32_u24_e32 v3, 0x3a8, v2
	v_add_co_u32 v13, vcc_lo, v15, v13
	s_wait_alu 0xfffd
	v_add_co_ci_u32_e32 v14, vcc_lo, v36, v14, vcc_lo
	v_lshlrev_b64_e32 v[2:3], 2, v[3:4]
	s_delay_alu instid0(VALU_DEP_3) | instskip(SKIP_1) | instid1(VALU_DEP_3)
	v_add_co_u32 v0, vcc_lo, v13, v0
	s_wait_alu 0xfffd
	v_add_co_ci_u32_e32 v1, vcc_lo, v14, v1, vcc_lo
	s_delay_alu instid0(VALU_DEP_3)
	v_add_co_u32 v2, vcc_lo, v13, v2
	s_wait_alu 0xfffd
	v_add_co_ci_u32_e32 v3, vcc_lo, v14, v3, vcc_lo
	s_wait_loadcnt 0x3
	v_lshrrev_b32_e32 v4, 16, v9
	v_lshrrev_b32_e32 v15, 16, v10
	s_wait_loadcnt 0x2
	v_lshrrev_b32_e32 v36, 16, v7
	v_lshrrev_b32_e32 v41, 16, v8
	;; [unrolled: 3-line block ×4, first 2 shown]
	s_wait_dscnt 0xb
	v_mul_f16_e32 v46, v28, v4
	s_wait_dscnt 0x7
	v_mul_f16_e32 v47, v32, v15
	v_mul_f16_e32 v4, v26, v4
	v_mul_f16_e32 v15, v27, v15
	v_mul_f16_e32 v48, v29, v36
	s_wait_dscnt 0x6
	v_mul_f16_e32 v49, v33, v41
	v_mul_f16_e32 v36, v23, v36
	v_mul_f16_e32 v41, v25, v41
	;; [unrolled: 5-line block ×4, first 2 shown]
	v_fma_f16 v26, v26, v9, -v46
	v_fma_f16 v27, v27, v10, -v47
	v_fmac_f16_e32 v4, v9, v28
	v_fmac_f16_e32 v15, v10, v32
	v_fma_f16 v9, v23, v7, -v48
	v_fma_f16 v10, v25, v8, -v49
	v_fmac_f16_e32 v36, v7, v29
	v_fmac_f16_e32 v41, v8, v33
	;; [unrolled: 4-line block ×4, first 2 shown]
	v_sub_f16_e32 v11, v26, v27
	v_add_f16_e32 v12, v4, v15
	v_add_f16_e32 v20, v26, v27
	;; [unrolled: 1-line block ×3, first 2 shown]
	v_sub_f16_e32 v23, v9, v10
	v_add_f16_e32 v24, v36, v41
	v_add_f16_e32 v25, v9, v10
	v_sub_f16_e32 v26, v36, v41
	s_wait_dscnt 0x2
	v_add_f16_e32 v28, v36, v38
	v_add_f16_e32 v9, v18, v9
	v_sub_f16_e32 v29, v7, v8
	v_add_f16_e32 v30, v42, v43
	v_add_f16_e32 v31, v7, v8
	v_sub_f16_e32 v32, v42, v43
	s_wait_dscnt 0x1
	v_add_f16_e32 v33, v42, v39
	v_add_f16_e32 v7, v17, v7
	;; [unrolled: 7-line block ×3, first 2 shown]
	v_sub_f16_e32 v21, v4, v15
	v_add_f16_e32 v4, v4, v37
	v_fma_f16 v12, -0.5, v12, v37
	v_fma_f16 v19, -0.5, v20, v19
	;; [unrolled: 1-line block ×4, first 2 shown]
	v_add_f16_e32 v9, v9, v10
	v_fma_f16 v10, -0.5, v30, v39
	v_add_f16_e32 v7, v7, v8
	v_fma_f16 v8, -0.5, v35, v40
	v_fma_f16 v16, -0.5, v36, v16
	v_add_f16_e32 v25, v45, v44
	v_add_f16_e32 v5, v5, v6
	v_fma_f16 v17, -0.5, v31, v17
	v_add_f16_e32 v4, v15, v4
	v_add_f16_e32 v15, v22, v27
	;; [unrolled: 1-line block ×3, first 2 shown]
	v_fmamk_f16 v6, v11, 0x3aee, v12
	v_fmac_f16_e32 v12, 0xbaee, v11
	v_fmamk_f16 v11, v23, 0x3aee, v20
	v_fmac_f16_e32 v20, 0xbaee, v23
	;; [unrolled: 2-line block ×3, first 2 shown]
	v_fmamk_f16 v28, v34, 0x3aee, v8
	v_fmamk_f16 v29, v42, 0xbaee, v16
	v_fmac_f16_e32 v8, 0xbaee, v34
	v_pack_b32_f16 v5, v5, v25
	v_fmac_f16_e32 v16, 0x3aee, v42
	v_add_f16_e32 v24, v43, v33
	v_fmamk_f16 v27, v21, 0xbaee, v19
	v_fmac_f16_e32 v19, 0x3aee, v21
	v_fmamk_f16 v21, v26, 0xbaee, v18
	v_fmac_f16_e32 v18, 0x3aee, v26
	;; [unrolled: 2-line block ×3, first 2 shown]
	global_store_b32 v[13:14], v5, off
	v_pack_b32_f16 v5, v16, v8
	v_pack_b32_f16 v7, v7, v24
	;; [unrolled: 1-line block ×11, first 2 shown]
	s_clause 0xa
	global_store_b32 v[13:14], v5, off offset:1872
	global_store_b32 v[13:14], v7, off offset:468
	;; [unrolled: 1-line block ×11, first 2 shown]
.LBB0_21:
	s_nop 0
	s_sendmsg sendmsg(MSG_DEALLOC_VGPRS)
	s_endpgm
	.section	.rodata,"a",@progbits
	.p2align	6, 0x0
	.amdhsa_kernel fft_rtc_fwd_len1404_factors_2_2_3_13_3_3_wgs_117_tpt_117_halfLds_half_ip_CI_unitstride_sbrr_dirReg
		.amdhsa_group_segment_fixed_size 0
		.amdhsa_private_segment_fixed_size 0
		.amdhsa_kernarg_size 88
		.amdhsa_user_sgpr_count 2
		.amdhsa_user_sgpr_dispatch_ptr 0
		.amdhsa_user_sgpr_queue_ptr 0
		.amdhsa_user_sgpr_kernarg_segment_ptr 1
		.amdhsa_user_sgpr_dispatch_id 0
		.amdhsa_user_sgpr_private_segment_size 0
		.amdhsa_wavefront_size32 1
		.amdhsa_uses_dynamic_stack 0
		.amdhsa_enable_private_segment 0
		.amdhsa_system_sgpr_workgroup_id_x 1
		.amdhsa_system_sgpr_workgroup_id_y 0
		.amdhsa_system_sgpr_workgroup_id_z 0
		.amdhsa_system_sgpr_workgroup_info 0
		.amdhsa_system_vgpr_workitem_id 0
		.amdhsa_next_free_vgpr 81
		.amdhsa_next_free_sgpr 32
		.amdhsa_reserve_vcc 1
		.amdhsa_float_round_mode_32 0
		.amdhsa_float_round_mode_16_64 0
		.amdhsa_float_denorm_mode_32 3
		.amdhsa_float_denorm_mode_16_64 3
		.amdhsa_fp16_overflow 0
		.amdhsa_workgroup_processor_mode 1
		.amdhsa_memory_ordered 1
		.amdhsa_forward_progress 0
		.amdhsa_round_robin_scheduling 0
		.amdhsa_exception_fp_ieee_invalid_op 0
		.amdhsa_exception_fp_denorm_src 0
		.amdhsa_exception_fp_ieee_div_zero 0
		.amdhsa_exception_fp_ieee_overflow 0
		.amdhsa_exception_fp_ieee_underflow 0
		.amdhsa_exception_fp_ieee_inexact 0
		.amdhsa_exception_int_div_zero 0
	.end_amdhsa_kernel
	.text
.Lfunc_end0:
	.size	fft_rtc_fwd_len1404_factors_2_2_3_13_3_3_wgs_117_tpt_117_halfLds_half_ip_CI_unitstride_sbrr_dirReg, .Lfunc_end0-fft_rtc_fwd_len1404_factors_2_2_3_13_3_3_wgs_117_tpt_117_halfLds_half_ip_CI_unitstride_sbrr_dirReg
                                        ; -- End function
	.section	.AMDGPU.csdata,"",@progbits
; Kernel info:
; codeLenInByte = 10864
; NumSgprs: 34
; NumVgprs: 81
; ScratchSize: 0
; MemoryBound: 0
; FloatMode: 240
; IeeeMode: 1
; LDSByteSize: 0 bytes/workgroup (compile time only)
; SGPRBlocks: 4
; VGPRBlocks: 10
; NumSGPRsForWavesPerEU: 34
; NumVGPRsForWavesPerEU: 81
; Occupancy: 16
; WaveLimiterHint : 1
; COMPUTE_PGM_RSRC2:SCRATCH_EN: 0
; COMPUTE_PGM_RSRC2:USER_SGPR: 2
; COMPUTE_PGM_RSRC2:TRAP_HANDLER: 0
; COMPUTE_PGM_RSRC2:TGID_X_EN: 1
; COMPUTE_PGM_RSRC2:TGID_Y_EN: 0
; COMPUTE_PGM_RSRC2:TGID_Z_EN: 0
; COMPUTE_PGM_RSRC2:TIDIG_COMP_CNT: 0
	.text
	.p2alignl 7, 3214868480
	.fill 96, 4, 3214868480
	.type	__hip_cuid_a13c86dd4dd08f86,@object ; @__hip_cuid_a13c86dd4dd08f86
	.section	.bss,"aw",@nobits
	.globl	__hip_cuid_a13c86dd4dd08f86
__hip_cuid_a13c86dd4dd08f86:
	.byte	0                               ; 0x0
	.size	__hip_cuid_a13c86dd4dd08f86, 1

	.ident	"AMD clang version 19.0.0git (https://github.com/RadeonOpenCompute/llvm-project roc-6.4.0 25133 c7fe45cf4b819c5991fe208aaa96edf142730f1d)"
	.section	".note.GNU-stack","",@progbits
	.addrsig
	.addrsig_sym __hip_cuid_a13c86dd4dd08f86
	.amdgpu_metadata
---
amdhsa.kernels:
  - .args:
      - .actual_access:  read_only
        .address_space:  global
        .offset:         0
        .size:           8
        .value_kind:     global_buffer
      - .offset:         8
        .size:           8
        .value_kind:     by_value
      - .actual_access:  read_only
        .address_space:  global
        .offset:         16
        .size:           8
        .value_kind:     global_buffer
      - .actual_access:  read_only
        .address_space:  global
        .offset:         24
        .size:           8
        .value_kind:     global_buffer
      - .offset:         32
        .size:           8
        .value_kind:     by_value
      - .actual_access:  read_only
        .address_space:  global
        .offset:         40
        .size:           8
        .value_kind:     global_buffer
      - .actual_access:  read_only
        .address_space:  global
        .offset:         48
        .size:           8
        .value_kind:     global_buffer
      - .offset:         56
        .size:           4
        .value_kind:     by_value
      - .actual_access:  read_only
        .address_space:  global
        .offset:         64
        .size:           8
        .value_kind:     global_buffer
      - .actual_access:  read_only
        .address_space:  global
        .offset:         72
        .size:           8
        .value_kind:     global_buffer
      - .address_space:  global
        .offset:         80
        .size:           8
        .value_kind:     global_buffer
    .group_segment_fixed_size: 0
    .kernarg_segment_align: 8
    .kernarg_segment_size: 88
    .language:       OpenCL C
    .language_version:
      - 2
      - 0
    .max_flat_workgroup_size: 117
    .name:           fft_rtc_fwd_len1404_factors_2_2_3_13_3_3_wgs_117_tpt_117_halfLds_half_ip_CI_unitstride_sbrr_dirReg
    .private_segment_fixed_size: 0
    .sgpr_count:     34
    .sgpr_spill_count: 0
    .symbol:         fft_rtc_fwd_len1404_factors_2_2_3_13_3_3_wgs_117_tpt_117_halfLds_half_ip_CI_unitstride_sbrr_dirReg.kd
    .uniform_work_group_size: 1
    .uses_dynamic_stack: false
    .vgpr_count:     81
    .vgpr_spill_count: 0
    .wavefront_size: 32
    .workgroup_processor_mode: 1
amdhsa.target:   amdgcn-amd-amdhsa--gfx1201
amdhsa.version:
  - 1
  - 2
...

	.end_amdgpu_metadata
